;; amdgpu-corpus repo=zjin-lcf/HeCBench kind=compiled arch=gfx1250 opt=O3
	.amdgcn_target "amdgcn-amd-amdhsa--gfx1250"
	.amdhsa_code_object_version 6
	.text
	.protected	_Z6kernelPKdPdi         ; -- Begin function _Z6kernelPKdPdi
	.globl	_Z6kernelPKdPdi
	.p2align	8
	.type	_Z6kernelPKdPdi,@function
_Z6kernelPKdPdi:                        ; @_Z6kernelPKdPdi
; %bb.0:
	s_mov_b64 s[10:11], s[6:7]
	s_clause 0x1
	s_load_b32 s6, s[4:5], 0x24
	s_load_b32 s8, s[4:5], 0x10
	s_bfe_u32 s7, ttmp6, 0x4000c
	s_and_b32 s9, ttmp6, 15
	s_add_co_i32 s7, s7, 1
	s_getreg_b32 s12, hwreg(HW_REG_IB_STS2, 6, 4)
	s_mul_i32 s7, ttmp9, s7
	v_and_b32_e32 v1, 0x3ff, v0
	s_add_co_i32 s9, s9, s7
	s_mov_b32 s32, 0
	s_wait_kmcnt 0x0
	s_and_b32 s6, s6, 0xffff
	s_cmp_eq_u32 s12, 0
	s_cselect_b32 s7, ttmp9, s9
	s_delay_alu instid0(SALU_CYCLE_1) | instskip(SKIP_1) | instid1(VALU_DEP_1)
	v_mad_u32 v40, s7, s6, v1
	s_mov_b32 s6, exec_lo
	v_cmpx_gt_i32_e64 s8, v40
	s_cbranch_execz .LBB0_2
; %bb.1:
	s_load_b128 s[36:39], s[4:5], 0x0
	s_add_nc_u64 s[8:9], s[4:5], 24
	s_get_pc_i64 s[12:13]
	s_add_nc_u64 s[12:13], s[12:13], _Z21Fresnel_Sine_Integrald@rel64+4
	s_wait_xcnt 0x0
	s_mov_b64 s[4:5], s[0:1]
	s_mov_b64 s[6:7], s[2:3]
	s_wait_kmcnt 0x0
	global_load_b64 v[2:3], v40, s[36:37] scale_offset
	s_wait_loadcnt 0x0
	v_dual_mov_b32 v31, v0 :: v_dual_mov_b32 v0, v2
	v_mov_b32_e32 v1, v3
	s_swap_pc_i64 s[30:31], s[12:13]
	global_store_b64 v40, v[0:1], s[38:39] scale_offset
.LBB0_2:
	s_endpgm
	.section	.rodata,"a",@progbits
	.p2align	6, 0x0
	.amdhsa_kernel _Z6kernelPKdPdi
		.amdhsa_group_segment_fixed_size 0
		.amdhsa_private_segment_fixed_size 0
		.amdhsa_kernarg_size 280
		.amdhsa_user_sgpr_count 8
		.amdhsa_user_sgpr_dispatch_ptr 1
		.amdhsa_user_sgpr_queue_ptr 1
		.amdhsa_user_sgpr_kernarg_segment_ptr 1
		.amdhsa_user_sgpr_dispatch_id 1
		.amdhsa_user_sgpr_kernarg_preload_length 0
		.amdhsa_user_sgpr_kernarg_preload_offset 0
		.amdhsa_user_sgpr_private_segment_size 0
		.amdhsa_wavefront_size32 1
		.amdhsa_uses_dynamic_stack 1
		.amdhsa_enable_private_segment 1
		.amdhsa_system_sgpr_workgroup_id_x 1
		.amdhsa_system_sgpr_workgroup_id_y 1
		.amdhsa_system_sgpr_workgroup_id_z 1
		.amdhsa_system_sgpr_workgroup_info 0
		.amdhsa_system_vgpr_workitem_id 2
		.amdhsa_next_free_vgpr max(totalnumvgprs(_Z6kernelPKdPdi.num_agpr, _Z6kernelPKdPdi.num_vgpr), 1, 0)
		.amdhsa_next_free_sgpr max(_Z6kernelPKdPdi.numbered_sgpr+2, 1, 0)-2
		.amdhsa_named_barrier_count (((((alignto(_Z6kernelPKdPdi.num_named_barrier, 4)/4)<<14)&~4080)|32)&114688)>>14
		.amdhsa_reserve_vcc 1
		.amdhsa_float_round_mode_32 0
		.amdhsa_float_round_mode_16_64 0
		.amdhsa_float_denorm_mode_32 3
		.amdhsa_float_denorm_mode_16_64 3
		.amdhsa_fp16_overflow 0
		.amdhsa_memory_ordered 1
		.amdhsa_forward_progress 1
		.amdhsa_inst_pref_size 2
		.amdhsa_round_robin_scheduling 0
		.amdhsa_exception_fp_ieee_invalid_op 0
		.amdhsa_exception_fp_denorm_src 0
		.amdhsa_exception_fp_ieee_div_zero 0
		.amdhsa_exception_fp_ieee_overflow 0
		.amdhsa_exception_fp_ieee_underflow 0
		.amdhsa_exception_fp_ieee_inexact 0
		.amdhsa_exception_int_div_zero 0
	.end_amdhsa_kernel
	.text
.Lfunc_end0:
	.size	_Z6kernelPKdPdi, .Lfunc_end0-_Z6kernelPKdPdi
                                        ; -- End function
	.set _Z6kernelPKdPdi.num_vgpr, max(41, amdgpu.max_num_vgpr)
	.set _Z6kernelPKdPdi.num_agpr, max(0, amdgpu.max_num_agpr)
	.set _Z6kernelPKdPdi.numbered_sgpr, max(40, amdgpu.max_num_sgpr)
	.set _Z6kernelPKdPdi.num_named_barrier, max(0, amdgpu.max_num_named_barrier)
	.set _Z6kernelPKdPdi.private_seg_size, 0
	.set _Z6kernelPKdPdi.uses_vcc, 1
	.set _Z6kernelPKdPdi.uses_flat_scratch, 1
	.set _Z6kernelPKdPdi.has_dyn_sized_stack, 1
	.set _Z6kernelPKdPdi.has_recursion, 1
	.set _Z6kernelPKdPdi.has_indirect_call, 1
	.section	.AMDGPU.csdata,"",@progbits
; Kernel info:
; codeLenInByte = 204
; TotalNumSgprs: _Z6kernelPKdPdi.numbered_sgpr+2
; NumVgprs: _Z6kernelPKdPdi.num_vgpr
; ScratchSize: 0
; MemoryBound: 0
; FloatMode: 240
; IeeeMode: 1
; LDSByteSize: 0 bytes/workgroup (compile time only)
; SGPRBlocks: 0
; VGPRBlocks: (alignto(max(max(totalnumvgprs(_Z6kernelPKdPdi.num_agpr, _Z6kernelPKdPdi.num_vgpr), 1, 0), 1), 16)/16)-1
; NumSGPRsForWavesPerEU: max(_Z6kernelPKdPdi.numbered_sgpr+2, 1, 0)
; NumVGPRsForWavesPerEU: max(totalnumvgprs(_Z6kernelPKdPdi.num_agpr, _Z6kernelPKdPdi.num_vgpr), 1, 0)
; NamedBarCnt: alignto(_Z6kernelPKdPdi.num_named_barrier, 4)/4
; Occupancy: occupancy(16, 16, 1024, 11, 16, max(_Z6kernelPKdPdi.numbered_sgpr+extrasgprs(_Z6kernelPKdPdi.uses_vcc, _Z6kernelPKdPdi.uses_flat_scratch, 1), 1, 0), max(totalnumvgprs(_Z6kernelPKdPdi.num_agpr, _Z6kernelPKdPdi.num_vgpr), 1, 0))
; WaveLimiterHint : 0
; COMPUTE_PGM_RSRC2:SCRATCH_EN: 1
; COMPUTE_PGM_RSRC2:USER_SGPR: 8
; COMPUTE_PGM_RSRC2:TRAP_HANDLER: 0
; COMPUTE_PGM_RSRC2:TGID_X_EN: 1
; COMPUTE_PGM_RSRC2:TGID_Y_EN: 1
; COMPUTE_PGM_RSRC2:TGID_Z_EN: 1
; COMPUTE_PGM_RSRC2:TIDIG_COMP_CNT: 2
	.text
	.p2alignl 7, 3214868480
	.fill 96, 4, 3214868480
	.section	.AMDGPU.gpr_maximums,"",@progbits
	.set amdgpu.max_num_vgpr, 0
	.set amdgpu.max_num_agpr, 0
	.set amdgpu.max_num_sgpr, 0
	.text
	.type	__hip_cuid_9131cbb2ba36fa6d,@object ; @__hip_cuid_9131cbb2ba36fa6d
	.section	.bss,"aw",@nobits
	.globl	__hip_cuid_9131cbb2ba36fa6d
__hip_cuid_9131cbb2ba36fa6d:
	.byte	0                               ; 0x0
	.size	__hip_cuid_9131cbb2ba36fa6d, 1

	.hidden	_Z21Fresnel_Sine_Integrald
	.ident	"AMD clang version 22.0.0git (https://github.com/RadeonOpenCompute/llvm-project roc-7.2.4 26084 f58b06dce1f9c15707c5f808fd002e18c2accf7e)"
	.section	".note.GNU-stack","",@progbits
	.addrsig
	.addrsig_sym __hip_cuid_9131cbb2ba36fa6d
	.amdgpu_metadata
---
amdhsa.kernels:
  - .args:
      - .actual_access:  read_only
        .address_space:  global
        .offset:         0
        .size:           8
        .value_kind:     global_buffer
      - .actual_access:  write_only
        .address_space:  global
        .offset:         8
        .size:           8
        .value_kind:     global_buffer
      - .offset:         16
        .size:           4
        .value_kind:     by_value
      - .offset:         24
        .size:           4
        .value_kind:     hidden_block_count_x
      - .offset:         28
        .size:           4
        .value_kind:     hidden_block_count_y
      - .offset:         32
        .size:           4
        .value_kind:     hidden_block_count_z
      - .offset:         36
        .size:           2
        .value_kind:     hidden_group_size_x
      - .offset:         38
        .size:           2
        .value_kind:     hidden_group_size_y
      - .offset:         40
        .size:           2
        .value_kind:     hidden_group_size_z
      - .offset:         42
        .size:           2
        .value_kind:     hidden_remainder_x
      - .offset:         44
        .size:           2
        .value_kind:     hidden_remainder_y
      - .offset:         46
        .size:           2
        .value_kind:     hidden_remainder_z
      - .offset:         64
        .size:           8
        .value_kind:     hidden_global_offset_x
      - .offset:         72
        .size:           8
        .value_kind:     hidden_global_offset_y
      - .offset:         80
        .size:           8
        .value_kind:     hidden_global_offset_z
      - .offset:         88
        .size:           2
        .value_kind:     hidden_grid_dims
      - .offset:         104
        .size:           8
        .value_kind:     hidden_hostcall_buffer
      - .offset:         112
        .size:           8
        .value_kind:     hidden_multigrid_sync_arg
      - .offset:         120
        .size:           8
        .value_kind:     hidden_heap_v1
      - .offset:         128
        .size:           8
        .value_kind:     hidden_default_queue
      - .offset:         136
        .size:           8
        .value_kind:     hidden_completion_action
      - .offset:         224
        .size:           8
        .value_kind:     hidden_queue_ptr
    .group_segment_fixed_size: 0
    .kernarg_segment_align: 8
    .kernarg_segment_size: 280
    .language:       OpenCL C
    .language_version:
      - 2
      - 0
    .max_flat_workgroup_size: 1024
    .name:           _Z6kernelPKdPdi
    .private_segment_fixed_size: 0
    .sgpr_count:     42
    .sgpr_spill_count: 0
    .symbol:         _Z6kernelPKdPdi.kd
    .uniform_work_group_size: 1
    .uses_dynamic_stack: true
    .vgpr_count:     41
    .vgpr_spill_count: 0
    .wavefront_size: 32
amdhsa.target:   amdgcn-amd-amdhsa--gfx1250
amdhsa.version:
  - 1
  - 2
...

	.end_amdgpu_metadata
